;; amdgpu-corpus repo=ROCm/rocFFT kind=compiled arch=gfx1030 opt=O3
	.text
	.amdgcn_target "amdgcn-amd-amdhsa--gfx1030"
	.amdhsa_code_object_version 6
	.protected	fft_rtc_fwd_len80_factors_5_2_8_wgs_60_tpt_10_halfLds_dp_op_CI_CI_unitstride_sbrr_R2C_dirReg ; -- Begin function fft_rtc_fwd_len80_factors_5_2_8_wgs_60_tpt_10_halfLds_dp_op_CI_CI_unitstride_sbrr_R2C_dirReg
	.globl	fft_rtc_fwd_len80_factors_5_2_8_wgs_60_tpt_10_halfLds_dp_op_CI_CI_unitstride_sbrr_R2C_dirReg
	.p2align	8
	.type	fft_rtc_fwd_len80_factors_5_2_8_wgs_60_tpt_10_halfLds_dp_op_CI_CI_unitstride_sbrr_R2C_dirReg,@function
fft_rtc_fwd_len80_factors_5_2_8_wgs_60_tpt_10_halfLds_dp_op_CI_CI_unitstride_sbrr_R2C_dirReg: ; @fft_rtc_fwd_len80_factors_5_2_8_wgs_60_tpt_10_halfLds_dp_op_CI_CI_unitstride_sbrr_R2C_dirReg
; %bb.0:
	s_load_dwordx4 s[12:15], s[4:5], 0x0
	v_mul_u32_u24_e32 v1, 0x199a, v0
	s_clause 0x1
	s_load_dwordx4 s[8:11], s[4:5], 0x58
	s_load_dwordx4 s[16:19], s[4:5], 0x18
	v_mov_b32_e32 v5, 0
	v_lshrrev_b32_e32 v3, 16, v1
	v_mov_b32_e32 v1, 0
	v_mov_b32_e32 v2, 0
	v_mad_u64_u32 v[3:4], null, s6, 6, v[3:4]
	v_mov_b32_e32 v4, v5
	v_mov_b32_e32 v21, v2
	;; [unrolled: 1-line block ×5, first 2 shown]
	s_waitcnt lgkmcnt(0)
	v_cmp_lt_u64_e64 s0, s[14:15], 2
	s_and_b32 vcc_lo, exec_lo, s0
	s_cbranch_vccnz .LBB0_8
; %bb.1:
	s_load_dwordx2 s[0:1], s[4:5], 0x10
	v_mov_b32_e32 v1, 0
	v_mov_b32_e32 v2, 0
	s_add_u32 s2, s18, 8
	v_mov_b32_e32 v8, v4
	s_addc_u32 s3, s19, 0
	v_mov_b32_e32 v7, v3
	v_mov_b32_e32 v21, v2
	s_add_u32 s6, s16, 8
	v_mov_b32_e32 v20, v1
	s_addc_u32 s7, s17, 0
	s_mov_b64 s[22:23], 1
	s_waitcnt lgkmcnt(0)
	s_add_u32 s20, s0, 8
	s_addc_u32 s21, s1, 0
.LBB0_2:                                ; =>This Inner Loop Header: Depth=1
	s_load_dwordx2 s[24:25], s[20:21], 0x0
                                        ; implicit-def: $vgpr22_vgpr23
	s_mov_b32 s0, exec_lo
	s_waitcnt lgkmcnt(0)
	v_or_b32_e32 v6, s25, v8
	v_cmpx_ne_u64_e32 0, v[5:6]
	s_xor_b32 s1, exec_lo, s0
	s_cbranch_execz .LBB0_4
; %bb.3:                                ;   in Loop: Header=BB0_2 Depth=1
	v_cvt_f32_u32_e32 v4, s24
	v_cvt_f32_u32_e32 v6, s25
	s_sub_u32 s0, 0, s24
	s_subb_u32 s26, 0, s25
	v_fmac_f32_e32 v4, 0x4f800000, v6
	v_rcp_f32_e32 v4, v4
	v_mul_f32_e32 v4, 0x5f7ffffc, v4
	v_mul_f32_e32 v6, 0x2f800000, v4
	v_trunc_f32_e32 v6, v6
	v_fmac_f32_e32 v4, 0xcf800000, v6
	v_cvt_u32_f32_e32 v6, v6
	v_cvt_u32_f32_e32 v4, v4
	v_mul_lo_u32 v9, s0, v6
	v_mul_hi_u32 v10, s0, v4
	v_mul_lo_u32 v11, s26, v4
	v_add_nc_u32_e32 v9, v10, v9
	v_mul_lo_u32 v10, s0, v4
	v_add_nc_u32_e32 v9, v9, v11
	v_mul_hi_u32 v11, v4, v10
	v_mul_lo_u32 v12, v4, v9
	v_mul_hi_u32 v13, v4, v9
	v_mul_hi_u32 v14, v6, v10
	v_mul_lo_u32 v10, v6, v10
	v_mul_hi_u32 v15, v6, v9
	v_mul_lo_u32 v9, v6, v9
	v_add_co_u32 v11, vcc_lo, v11, v12
	v_add_co_ci_u32_e32 v12, vcc_lo, 0, v13, vcc_lo
	v_add_co_u32 v10, vcc_lo, v11, v10
	v_add_co_ci_u32_e32 v10, vcc_lo, v12, v14, vcc_lo
	v_add_co_ci_u32_e32 v11, vcc_lo, 0, v15, vcc_lo
	v_add_co_u32 v9, vcc_lo, v10, v9
	v_add_co_ci_u32_e32 v10, vcc_lo, 0, v11, vcc_lo
	v_add_co_u32 v4, vcc_lo, v4, v9
	v_add_co_ci_u32_e32 v6, vcc_lo, v6, v10, vcc_lo
	v_mul_hi_u32 v9, s0, v4
	v_mul_lo_u32 v11, s26, v4
	v_mul_lo_u32 v10, s0, v6
	v_add_nc_u32_e32 v9, v9, v10
	v_mul_lo_u32 v10, s0, v4
	v_add_nc_u32_e32 v9, v9, v11
	v_mul_hi_u32 v11, v4, v10
	v_mul_lo_u32 v12, v4, v9
	v_mul_hi_u32 v13, v4, v9
	v_mul_hi_u32 v14, v6, v10
	v_mul_lo_u32 v10, v6, v10
	v_mul_hi_u32 v15, v6, v9
	v_mul_lo_u32 v9, v6, v9
	v_add_co_u32 v11, vcc_lo, v11, v12
	v_add_co_ci_u32_e32 v12, vcc_lo, 0, v13, vcc_lo
	v_add_co_u32 v10, vcc_lo, v11, v10
	v_add_co_ci_u32_e32 v10, vcc_lo, v12, v14, vcc_lo
	v_add_co_ci_u32_e32 v11, vcc_lo, 0, v15, vcc_lo
	v_add_co_u32 v9, vcc_lo, v10, v9
	v_add_co_ci_u32_e32 v10, vcc_lo, 0, v11, vcc_lo
	v_add_co_u32 v4, vcc_lo, v4, v9
	v_add_co_ci_u32_e32 v6, vcc_lo, v6, v10, vcc_lo
	v_mul_hi_u32 v15, v7, v4
	v_mad_u64_u32 v[11:12], null, v8, v4, 0
	v_mad_u64_u32 v[9:10], null, v7, v6, 0
	;; [unrolled: 1-line block ×3, first 2 shown]
	v_add_co_u32 v4, vcc_lo, v15, v9
	v_add_co_ci_u32_e32 v6, vcc_lo, 0, v10, vcc_lo
	v_add_co_u32 v4, vcc_lo, v4, v11
	v_add_co_ci_u32_e32 v4, vcc_lo, v6, v12, vcc_lo
	v_add_co_ci_u32_e32 v6, vcc_lo, 0, v14, vcc_lo
	v_add_co_u32 v4, vcc_lo, v4, v13
	v_add_co_ci_u32_e32 v6, vcc_lo, 0, v6, vcc_lo
	v_mul_lo_u32 v11, s25, v4
	v_mad_u64_u32 v[9:10], null, s24, v4, 0
	v_mul_lo_u32 v12, s24, v6
	v_sub_co_u32 v9, vcc_lo, v7, v9
	v_add3_u32 v10, v10, v12, v11
	v_sub_nc_u32_e32 v11, v8, v10
	v_subrev_co_ci_u32_e64 v11, s0, s25, v11, vcc_lo
	v_add_co_u32 v12, s0, v4, 2
	v_add_co_ci_u32_e64 v13, s0, 0, v6, s0
	v_sub_co_u32 v14, s0, v9, s24
	v_sub_co_ci_u32_e32 v10, vcc_lo, v8, v10, vcc_lo
	v_subrev_co_ci_u32_e64 v11, s0, 0, v11, s0
	v_cmp_le_u32_e32 vcc_lo, s24, v14
	v_cmp_eq_u32_e64 s0, s25, v10
	v_cndmask_b32_e64 v14, 0, -1, vcc_lo
	v_cmp_le_u32_e32 vcc_lo, s25, v11
	v_cndmask_b32_e64 v15, 0, -1, vcc_lo
	v_cmp_le_u32_e32 vcc_lo, s24, v9
	;; [unrolled: 2-line block ×3, first 2 shown]
	v_cndmask_b32_e64 v16, 0, -1, vcc_lo
	v_cmp_eq_u32_e32 vcc_lo, s25, v11
	v_cndmask_b32_e64 v9, v16, v9, s0
	v_cndmask_b32_e32 v11, v15, v14, vcc_lo
	v_add_co_u32 v14, vcc_lo, v4, 1
	v_add_co_ci_u32_e32 v15, vcc_lo, 0, v6, vcc_lo
	v_cmp_ne_u32_e32 vcc_lo, 0, v11
	v_cndmask_b32_e32 v10, v15, v13, vcc_lo
	v_cndmask_b32_e32 v11, v14, v12, vcc_lo
	v_cmp_ne_u32_e32 vcc_lo, 0, v9
	v_cndmask_b32_e32 v23, v6, v10, vcc_lo
	v_cndmask_b32_e32 v22, v4, v11, vcc_lo
.LBB0_4:                                ;   in Loop: Header=BB0_2 Depth=1
	s_andn2_saveexec_b32 s0, s1
	s_cbranch_execz .LBB0_6
; %bb.5:                                ;   in Loop: Header=BB0_2 Depth=1
	v_cvt_f32_u32_e32 v4, s24
	s_sub_i32 s1, 0, s24
	v_mov_b32_e32 v23, v5
	v_rcp_iflag_f32_e32 v4, v4
	v_mul_f32_e32 v4, 0x4f7ffffe, v4
	v_cvt_u32_f32_e32 v4, v4
	v_mul_lo_u32 v6, s1, v4
	v_mul_hi_u32 v6, v4, v6
	v_add_nc_u32_e32 v4, v4, v6
	v_mul_hi_u32 v4, v7, v4
	v_mul_lo_u32 v6, v4, s24
	v_add_nc_u32_e32 v9, 1, v4
	v_sub_nc_u32_e32 v6, v7, v6
	v_subrev_nc_u32_e32 v10, s24, v6
	v_cmp_le_u32_e32 vcc_lo, s24, v6
	v_cndmask_b32_e32 v6, v6, v10, vcc_lo
	v_cndmask_b32_e32 v4, v4, v9, vcc_lo
	v_cmp_le_u32_e32 vcc_lo, s24, v6
	v_add_nc_u32_e32 v9, 1, v4
	v_cndmask_b32_e32 v22, v4, v9, vcc_lo
.LBB0_6:                                ;   in Loop: Header=BB0_2 Depth=1
	s_or_b32 exec_lo, exec_lo, s0
	v_mul_lo_u32 v4, v23, s24
	v_mul_lo_u32 v6, v22, s25
	s_load_dwordx2 s[0:1], s[6:7], 0x0
	v_mad_u64_u32 v[9:10], null, v22, s24, 0
	s_load_dwordx2 s[24:25], s[2:3], 0x0
	s_add_u32 s22, s22, 1
	s_addc_u32 s23, s23, 0
	s_add_u32 s2, s2, 8
	s_addc_u32 s3, s3, 0
	s_add_u32 s6, s6, 8
	v_add3_u32 v4, v10, v6, v4
	v_sub_co_u32 v6, vcc_lo, v7, v9
	s_addc_u32 s7, s7, 0
	s_add_u32 s20, s20, 8
	v_sub_co_ci_u32_e32 v4, vcc_lo, v8, v4, vcc_lo
	s_addc_u32 s21, s21, 0
	s_waitcnt lgkmcnt(0)
	v_mul_lo_u32 v7, s0, v4
	v_mul_lo_u32 v8, s1, v6
	v_mad_u64_u32 v[1:2], null, s0, v6, v[1:2]
	v_mul_lo_u32 v4, s24, v4
	v_mul_lo_u32 v9, s25, v6
	v_mad_u64_u32 v[20:21], null, s24, v6, v[20:21]
	v_cmp_ge_u64_e64 s0, s[22:23], s[14:15]
	v_add3_u32 v2, v8, v2, v7
	v_add3_u32 v21, v9, v21, v4
	s_and_b32 vcc_lo, exec_lo, s0
	s_cbranch_vccnz .LBB0_8
; %bb.7:                                ;   in Loop: Header=BB0_2 Depth=1
	v_mov_b32_e32 v7, v22
	v_mov_b32_e32 v8, v23
	s_branch .LBB0_2
.LBB0_8:
	s_load_dwordx2 s[0:1], s[4:5], 0x28
	v_mul_hi_u32 v4, 0xaaaaaaab, v3
	s_lshl_b64 s[4:5], s[14:15], 3
                                        ; implicit-def: $vgpr24
                                        ; implicit-def: $vgpr26
	s_add_u32 s2, s18, s4
	s_addc_u32 s3, s19, s5
	v_lshrrev_b32_e32 v4, 2, v4
	v_mul_lo_u32 v5, v4, 6
	v_mul_hi_u32 v4, 0x1999999a, v0
	s_waitcnt lgkmcnt(0)
	v_cmp_gt_u64_e32 vcc_lo, s[0:1], v[22:23]
	v_cmp_le_u64_e64 s0, s[0:1], v[22:23]
	v_sub_nc_u32_e32 v3, v3, v5
	s_and_saveexec_b32 s1, s0
	s_xor_b32 s0, exec_lo, s1
; %bb.9:
	v_mul_u32_u24_e32 v1, 10, v4
                                        ; implicit-def: $vgpr4
	v_sub_nc_u32_e32 v24, v0, v1
                                        ; implicit-def: $vgpr0
                                        ; implicit-def: $vgpr1_vgpr2
	v_add_nc_u32_e32 v26, 10, v24
; %bb.10:
	s_or_saveexec_b32 s1, s0
	v_mul_u32_u24_e32 v3, 0x51, v3
	v_lshlrev_b32_e32 v30, 4, v3
	s_xor_b32 exec_lo, exec_lo, s1
	s_cbranch_execz .LBB0_12
; %bb.11:
	s_add_u32 s4, s16, s4
	s_addc_u32 s5, s17, s5
	v_lshlrev_b64 v[1:2], 4, v[1:2]
	s_load_dwordx2 s[4:5], s[4:5], 0x0
	s_waitcnt lgkmcnt(0)
	v_mul_lo_u32 v3, s5, v22
	v_mul_lo_u32 v7, s4, v23
	v_mad_u64_u32 v[5:6], null, s4, v22, 0
	v_add3_u32 v6, v6, v7, v3
	v_mul_u32_u24_e32 v7, 10, v4
	v_lshlrev_b64 v[3:4], 4, v[5:6]
	v_sub_nc_u32_e32 v24, v0, v7
	v_lshlrev_b32_e32 v27, 4, v24
	v_add_co_u32 v0, s0, s8, v3
	v_add_co_ci_u32_e64 v3, s0, s9, v4, s0
	v_add_co_u32 v0, s0, v0, v1
	v_add_co_ci_u32_e64 v1, s0, v3, v2, s0
	;; [unrolled: 2-line block ×3, first 2 shown]
	s_clause 0x7
	global_load_dwordx4 v[0:3], v[25:26], off
	global_load_dwordx4 v[4:7], v[25:26], off offset:160
	global_load_dwordx4 v[8:11], v[25:26], off offset:320
	;; [unrolled: 1-line block ×7, first 2 shown]
	v_add3_u32 v25, 0, v30, v27
	v_add_nc_u32_e32 v26, 10, v24
	s_waitcnt vmcnt(7)
	ds_write_b128 v25, v[0:3]
	s_waitcnt vmcnt(6)
	ds_write_b128 v25, v[4:7] offset:160
	s_waitcnt vmcnt(5)
	ds_write_b128 v25, v[8:11] offset:320
	;; [unrolled: 2-line block ×7, first 2 shown]
.LBB0_12:
	s_or_b32 exec_lo, exec_lo, s1
	v_lshlrev_b32_e32 v25, 4, v24
	v_add_nc_u32_e32 v28, 0, v30
	s_load_dwordx2 s[2:3], s[2:3], 0x0
	s_waitcnt lgkmcnt(0)
	s_barrier
	v_add3_u32 v27, 0, v25, v30
	v_add_nc_u32_e32 v29, v28, v25
	buffer_gl0_inv
	s_mov_b32 s14, 0x134454ff
	s_mov_b32 s15, 0x3fee6f0e
	ds_read_b128 v[8:11], v27 offset:256
	ds_read_b128 v[31:34], v29
	ds_read_b128 v[35:38], v27 offset:1024
	ds_read_b128 v[39:42], v27 offset:512
	;; [unrolled: 1-line block ×7, first 2 shown]
	s_mov_b32 s17, 0xbfee6f0e
	s_mov_b32 s16, s14
	;; [unrolled: 1-line block ×8, first 2 shown]
	s_mov_b32 s1, exec_lo
	s_waitcnt lgkmcnt(7)
	v_add_f64 v[47:48], v[31:32], v[8:9]
	v_add_f64 v[49:50], v[33:34], v[10:11]
	s_waitcnt lgkmcnt(6)
	v_add_f64 v[51:52], v[8:9], v[35:36]
	v_add_f64 v[53:54], v[10:11], v[37:38]
	s_waitcnt lgkmcnt(5)
	v_add_f64 v[55:56], v[8:9], -v[39:40]
	v_add_f64 v[57:58], v[39:40], -v[8:9]
	;; [unrolled: 1-line block ×6, first 2 shown]
	ds_read_b128 v[8:11], v27 offset:928
	s_waitcnt lgkmcnt(1)
	v_add_f64 v[67:68], v[39:40], v[43:44]
	v_add_f64 v[69:70], v[41:42], v[45:46]
	v_add_f64 v[71:72], v[35:36], -v[43:44]
	v_add_f64 v[73:74], v[37:38], -v[45:46]
	s_waitcnt lgkmcnt(0)
	s_barrier
	buffer_gl0_inv
	v_add_f64 v[47:48], v[47:48], v[39:40]
	v_add_f64 v[49:50], v[49:50], v[41:42]
	v_add_f64 v[39:40], v[39:40], -v[43:44]
	v_add_f64 v[41:42], v[41:42], -v[45:46]
	v_add_f64 v[47:48], v[47:48], v[43:44]
	v_add_f64 v[49:50], v[49:50], v[45:46]
	v_add_f64 v[43:44], v[43:44], -v[35:36]
	v_add_f64 v[45:46], v[45:46], -v[37:38]
	v_add_f64 v[35:36], v[47:48], v[35:36]
	v_fma_f64 v[47:48], v[67:68], -0.5, v[31:32]
	v_fma_f64 v[31:32], v[51:52], -0.5, v[31:32]
	v_add_f64 v[37:38], v[49:50], v[37:38]
	v_fma_f64 v[49:50], v[69:70], -0.5, v[33:34]
	v_fma_f64 v[33:34], v[53:54], -0.5, v[33:34]
	v_add_f64 v[53:54], v[57:58], v[43:44]
	v_add_f64 v[57:58], v[63:64], v[45:46]
	;; [unrolled: 1-line block ×4, first 2 shown]
	v_fma_f64 v[43:44], v[61:62], s[14:15], v[47:48]
	v_fma_f64 v[47:48], v[61:62], s[16:17], v[47:48]
	;; [unrolled: 1-line block ×20, first 2 shown]
	v_lshl_add_u32 v51, v24, 6, v27
	v_fma_f64 v[33:34], v[55:56], s[8:9], v[61:62]
	v_fma_f64 v[45:46], v[57:58], s[8:9], v[63:64]
	;; [unrolled: 1-line block ×4, first 2 shown]
	ds_write_b128 v51, v[35:38]
	ds_write_b128 v51, v[31:34] offset:16
	ds_write_b128 v51, v[43:46] offset:32
	;; [unrolled: 1-line block ×4, first 2 shown]
	v_cmpx_gt_u32_e32 6, v24
	s_cbranch_execz .LBB0_14
; %bb.13:
	v_add_f64 v[31:32], v[6:7], v[2:3]
	v_add_f64 v[33:34], v[18:19], v[10:11]
	;; [unrolled: 1-line block ×6, first 2 shown]
	v_add_f64 v[39:40], v[4:5], -v[0:1]
	v_add_f64 v[41:42], v[16:17], -v[8:9]
	;; [unrolled: 1-line block ×9, first 2 shown]
	v_fma_f64 v[31:32], v[31:32], -0.5, v[14:15]
	v_fma_f64 v[14:15], v[33:34], -0.5, v[14:15]
	v_add_f64 v[33:34], v[6:7], -v[2:3]
	v_fma_f64 v[35:36], v[35:36], -0.5, v[12:13]
	v_fma_f64 v[12:13], v[37:38], -0.5, v[12:13]
	v_add_f64 v[37:38], v[18:19], -v[6:7]
	v_add_f64 v[6:7], v[6:7], -v[18:19]
	v_add_f64 v[18:19], v[43:44], v[18:19]
	v_add_f64 v[16:17], v[45:46], v[16:17]
	v_fma_f64 v[43:44], v[41:42], s[16:17], v[31:32]
	v_fma_f64 v[31:32], v[41:42], s[14:15], v[31:32]
	;; [unrolled: 1-line block ×8, first 2 shown]
	v_add_f64 v[37:38], v[37:38], v[49:50]
	v_add_f64 v[49:50], v[6:7], v[51:52]
	;; [unrolled: 1-line block ×6, first 2 shown]
	v_fma_f64 v[8:9], v[39:40], s[6:7], v[43:44]
	v_fma_f64 v[10:11], v[39:40], s[4:5], v[31:32]
	;; [unrolled: 1-line block ×8, first 2 shown]
	v_add_f64 v[2:3], v[4:5], v[2:3]
	v_add_f64 v[0:1], v[6:7], v[0:1]
	v_fma_f64 v[6:7], v[37:38], s[8:9], v[8:9]
	v_fma_f64 v[10:11], v[37:38], s[8:9], v[10:11]
	;; [unrolled: 1-line block ×8, first 2 shown]
	v_mul_i32_i24_e32 v31, 0x50, v26
	v_add3_u32 v31, 0, v31, v30
	ds_write_b128 v31, v[0:3]
	ds_write_b128 v31, v[16:19] offset:16
	ds_write_b128 v31, v[8:11] offset:32
	;; [unrolled: 1-line block ×4, first 2 shown]
.LBB0_14:
	s_or_b32 exec_lo, exec_lo, s1
	v_add_nc_u16 v0, v24, 20
	v_and_b32_e32 v3, 0xff, v26
	v_add_nc_u16 v5, v24, 30
	v_add_nc_u32_e32 v1, -5, v24
	v_cmp_gt_u32_e64 s0, 5, v24
	v_and_b32_e32 v4, 0xff, v0
	v_mul_lo_u16 v6, 0xcd, v3
	v_and_b32_e32 v7, 0xff, v5
	v_mov_b32_e32 v2, 0
	v_cndmask_b32_e64 v1, v1, v24, s0
	v_mul_lo_u16 v8, 0xcd, v4
	v_lshrrev_b16 v19, 10, v6
	v_mul_lo_u16 v6, 0xcd, v7
	s_waitcnt lgkmcnt(0)
	v_lshlrev_b64 v[3:4], 4, v[1:2]
	v_lshrrev_b16 v65, 10, v8
	v_mov_b32_e32 v8, 4
	v_lshrrev_b16 v66, 10, v6
	v_mul_lo_u16 v6, v19, 5
	s_barrier
	v_mul_lo_u16 v7, v65, 5
	v_add_co_u32 v3, s0, s12, v3
	v_mul_lo_u16 v9, v66, 5
	v_sub_nc_u16 v6, v26, v6
	v_add_co_ci_u32_e64 v4, s0, s13, v4, s0
	v_sub_nc_u16 v0, v0, v7
	v_sub_nc_u16 v7, v5, v9
	v_lshlrev_b32_sdwa v67, v8, v6 dst_sel:DWORD dst_unused:UNUSED_PAD src0_sel:DWORD src1_sel:BYTE_0
	buffer_gl0_inv
	global_load_dwordx4 v[3:6], v[3:4], off
	v_lshlrev_b32_sdwa v0, v8, v0 dst_sel:DWORD dst_unused:UNUSED_PAD src0_sel:DWORD src1_sel:BYTE_0
	v_lshlrev_b32_sdwa v68, v8, v7 dst_sel:DWORD dst_unused:UNUSED_PAD src0_sel:DWORD src1_sel:BYTE_0
	s_clause 0x2
	global_load_dwordx4 v[7:10], v67, s[12:13]
	global_load_dwordx4 v[11:14], v0, s[12:13]
	;; [unrolled: 1-line block ×3, first 2 shown]
	ds_read_b128 v[31:34], v27 offset:640
	ds_read_b128 v[35:38], v27 offset:800
	;; [unrolled: 1-line block ×4, first 2 shown]
	v_lshlrev_b32_e32 v47, 4, v26
	v_cmp_lt_u32_e64 s0, 4, v24
	v_and_b32_e32 v19, 0xffff, v19
	v_lshlrev_b32_e32 v1, 4, v1
	s_mov_b32 s5, 0x3fe6a09e
	v_add3_u32 v69, 0, v47, v30
	ds_read_b128 v[47:50], v27 offset:480
	v_mad_u32_u24 v19, 0xa0, v19, 0
	ds_read_b128 v[51:54], v69
	v_add3_u32 v19, v19, v67, v30
	s_waitcnt vmcnt(3) lgkmcnt(5)
	v_mul_f64 v[55:56], v[33:34], v[5:6]
	v_mul_f64 v[5:6], v[31:32], v[5:6]
	s_waitcnt vmcnt(2) lgkmcnt(4)
	v_mul_f64 v[57:58], v[37:38], v[9:10]
	v_mul_f64 v[9:10], v[35:36], v[9:10]
	;; [unrolled: 3-line block ×4, first 2 shown]
	v_fma_f64 v[55:56], v[31:32], v[3:4], -v[55:56]
	v_fma_f64 v[63:64], v[33:34], v[3:4], v[5:6]
	ds_read_b128 v[3:6], v29
	ds_read_b128 v[31:34], v27 offset:320
	v_fma_f64 v[35:36], v[35:36], v[7:8], -v[57:58]
	v_fma_f64 v[37:38], v[37:38], v[7:8], v[9:10]
	v_fma_f64 v[39:40], v[39:40], v[11:12], -v[59:60]
	v_fma_f64 v[41:42], v[41:42], v[11:12], v[13:14]
	;; [unrolled: 2-line block ×3, first 2 shown]
	s_waitcnt lgkmcnt(0)
	s_barrier
	buffer_gl0_inv
	v_add_f64 v[7:8], v[3:4], -v[55:56]
	v_add_f64 v[9:10], v[5:6], -v[63:64]
	v_cndmask_b32_e64 v55, 0, 0xa0, s0
	v_add_f64 v[11:12], v[51:52], -v[35:36]
	v_add_f64 v[13:14], v[53:54], -v[37:38]
	;; [unrolled: 1-line block ×6, first 2 shown]
	v_mul_u32_u24_e32 v56, 7, v24
	s_mov_b32 s0, 0x667f3bcd
	s_mov_b32 s1, 0xbfe6a09e
	;; [unrolled: 1-line block ×3, first 2 shown]
	v_fma_f64 v[3:4], v[3:4], 2.0, -v[7:8]
	v_fma_f64 v[5:6], v[5:6], 2.0, -v[9:10]
	;; [unrolled: 1-line block ×8, first 2 shown]
	v_add_nc_u32_e32 v47, 0, v55
	v_and_b32_e32 v48, 0xffff, v65
	v_and_b32_e32 v49, 0xffff, v66
	v_lshlrev_b32_e32 v50, 4, v56
	v_add3_u32 v1, v47, v1, v30
	v_mad_u32_u24 v47, 0xa0, v48, 0
	v_mad_u32_u24 v48, 0xa0, v49, 0
	v_add3_u32 v0, v47, v0, v30
	v_add3_u32 v30, v48, v68, v30
	ds_write_b128 v1, v[7:10] offset:80
	ds_write_b128 v1, v[3:6]
	ds_write_b128 v19, v[11:14] offset:80
	ds_write_b128 v19, v[39:42]
	;; [unrolled: 2-line block ×3, first 2 shown]
	ds_write_b128 v30, v[43:46]
	ds_write_b128 v30, v[35:38] offset:80
	s_waitcnt lgkmcnt(0)
	s_barrier
	buffer_gl0_inv
	s_clause 0x6
	global_load_dwordx4 v[3:6], v50, s[12:13] offset:80
	global_load_dwordx4 v[7:10], v50, s[12:13] offset:96
	;; [unrolled: 1-line block ×7, first 2 shown]
	ds_read_b128 v[42:45], v69
	ds_read_b128 v[46:49], v27 offset:320
	ds_read_b128 v[50:53], v27 offset:1120
	;; [unrolled: 1-line block ×3, first 2 shown]
	ds_read_b128 v[58:61], v29
	ds_read_b128 v[62:65], v27 offset:960
	ds_read_b128 v[66:69], v27 offset:800
	s_waitcnt vmcnt(6) lgkmcnt(6)
	v_mul_f64 v[0:1], v[44:45], v[5:6]
	v_mul_f64 v[5:6], v[42:43], v[5:6]
	s_waitcnt vmcnt(5) lgkmcnt(5)
	v_mul_f64 v[70:71], v[48:49], v[9:10]
	v_mul_f64 v[9:10], v[46:47], v[9:10]
	s_waitcnt vmcnt(3) lgkmcnt(1)
	v_mul_f64 v[72:73], v[64:65], v[17:18]
	v_fma_f64 v[0:1], v[42:43], v[3:4], -v[0:1]
	v_fma_f64 v[42:43], v[44:45], v[3:4], v[5:6]
	v_mul_f64 v[44:45], v[56:57], v[13:14]
	v_mul_f64 v[13:14], v[54:55], v[13:14]
	ds_read_b128 v[3:6], v27 offset:480
	v_fma_f64 v[46:47], v[46:47], v[7:8], -v[70:71]
	v_fma_f64 v[7:8], v[48:49], v[7:8], v[9:10]
	v_mul_f64 v[9:10], v[62:63], v[17:18]
	s_waitcnt vmcnt(2) lgkmcnt(1)
	v_mul_f64 v[17:18], v[68:69], v[32:33]
	v_mul_f64 v[32:33], v[66:67], v[32:33]
	s_waitcnt vmcnt(0) lgkmcnt(0)
	s_barrier
	buffer_gl0_inv
	v_mul_f64 v[48:49], v[5:6], v[36:37]
	v_fma_f64 v[44:45], v[54:55], v[11:12], -v[44:45]
	v_fma_f64 v[11:12], v[56:57], v[11:12], v[13:14]
	v_mul_f64 v[13:14], v[3:4], v[36:37]
	v_mul_f64 v[36:37], v[52:53], v[40:41]
	;; [unrolled: 1-line block ×3, first 2 shown]
	v_fma_f64 v[54:55], v[62:63], v[15:16], -v[72:73]
	v_fma_f64 v[9:10], v[64:65], v[15:16], v[9:10]
	v_fma_f64 v[15:16], v[66:67], v[30:31], -v[17:18]
	v_fma_f64 v[17:18], v[68:69], v[30:31], v[32:33]
	v_fma_f64 v[3:4], v[3:4], v[34:35], -v[48:49]
	v_add_f64 v[32:33], v[58:59], -v[44:45]
	v_add_f64 v[11:12], v[60:61], -v[11:12]
	v_fma_f64 v[5:6], v[5:6], v[34:35], v[13:14]
	v_fma_f64 v[13:14], v[50:51], v[38:39], -v[36:37]
	v_fma_f64 v[30:31], v[52:53], v[38:39], v[40:41]
	v_add_f64 v[34:35], v[46:47], -v[54:55]
	v_add_f64 v[9:10], v[7:8], -v[9:10]
	;; [unrolled: 1-line block ×4, first 2 shown]
	v_fma_f64 v[36:37], v[58:59], 2.0, -v[32:33]
	v_fma_f64 v[38:39], v[60:61], 2.0, -v[11:12]
	v_add_f64 v[13:14], v[3:4], -v[13:14]
	v_add_f64 v[30:31], v[5:6], -v[30:31]
	v_fma_f64 v[40:41], v[46:47], 2.0, -v[34:35]
	v_fma_f64 v[7:8], v[7:8], 2.0, -v[9:10]
	;; [unrolled: 1-line block ×4, first 2 shown]
	v_add_f64 v[44:45], v[32:33], -v[9:10]
	v_add_f64 v[46:47], v[11:12], v[34:35]
	v_fma_f64 v[3:4], v[3:4], 2.0, -v[13:14]
	v_fma_f64 v[5:6], v[5:6], 2.0, -v[30:31]
	v_add_f64 v[9:10], v[15:16], -v[30:31]
	v_add_f64 v[13:14], v[17:18], v[13:14]
	v_add_f64 v[30:31], v[36:37], -v[40:41]
	v_add_f64 v[34:35], v[38:39], -v[7:8]
	v_fma_f64 v[48:49], v[32:33], 2.0, -v[44:45]
	v_fma_f64 v[50:51], v[11:12], 2.0, -v[46:47]
	v_add_f64 v[7:8], v[0:1], -v[3:4]
	v_add_f64 v[3:4], v[42:43], -v[5:6]
	v_fma_f64 v[32:33], v[15:16], 2.0, -v[9:10]
	v_fma_f64 v[15:16], v[17:18], 2.0, -v[13:14]
	v_fma_f64 v[11:12], v[9:10], s[4:5], v[44:45]
	v_fma_f64 v[17:18], v[13:14], s[4:5], v[46:47]
	v_fma_f64 v[40:41], v[36:37], 2.0, -v[30:31]
	v_fma_f64 v[52:53], v[38:39], 2.0, -v[34:35]
	;; [unrolled: 1-line block ×4, first 2 shown]
	v_fma_f64 v[38:39], v[32:33], s[0:1], v[48:49]
	v_fma_f64 v[42:43], v[15:16], s[0:1], v[50:51]
	v_add_f64 v[3:4], v[30:31], -v[3:4]
	v_add_f64 v[5:6], v[34:35], v[7:8]
	v_fma_f64 v[7:8], v[13:14], s[0:1], v[11:12]
	v_fma_f64 v[9:10], v[9:10], s[4:5], v[17:18]
	v_add_f64 v[11:12], v[40:41], -v[0:1]
	v_add_f64 v[13:14], v[52:53], -v[36:37]
	v_fma_f64 v[15:16], v[15:16], s[0:1], v[38:39]
	v_fma_f64 v[17:18], v[32:33], s[4:5], v[42:43]
	v_fma_f64 v[30:31], v[30:31], 2.0, -v[3:4]
	v_fma_f64 v[32:33], v[34:35], 2.0, -v[5:6]
	;; [unrolled: 1-line block ×4, first 2 shown]
	s_mov_b32 s1, exec_lo
                                        ; implicit-def: $vgpr0_vgpr1
	v_fma_f64 v[38:39], v[40:41], 2.0, -v[11:12]
	v_fma_f64 v[40:41], v[52:53], 2.0, -v[13:14]
	;; [unrolled: 1-line block ×4, first 2 shown]
	ds_write_b128 v27, v[3:6] offset:960
	ds_write_b128 v27, v[7:10] offset:1120
	;; [unrolled: 1-line block ×6, first 2 shown]
	ds_write_b128 v27, v[38:41]
	ds_write_b128 v27, v[42:45] offset:160
	s_waitcnt lgkmcnt(0)
	s_barrier
	buffer_gl0_inv
	ds_read_b128 v[4:7], v29
	v_sub_nc_u32_e32 v14, v28, v25
                                        ; implicit-def: $vgpr8_vgpr9
                                        ; implicit-def: $vgpr10_vgpr11
                                        ; implicit-def: $vgpr12_vgpr13
	v_cmpx_ne_u32_e32 0, v24
	s_xor_b32 s1, exec_lo, s1
	s_cbranch_execz .LBB0_16
; %bb.15:
	v_mov_b32_e32 v25, v2
	v_lshlrev_b64 v[0:1], 4, v[24:25]
	v_add_co_u32 v0, s0, s12, v0
	v_add_co_ci_u32_e64 v1, s0, s13, v1, s0
	global_load_dwordx4 v[15:18], v[0:1], off offset:1200
	ds_read_b128 v[0:3], v14 offset:1280
	s_waitcnt lgkmcnt(0)
	v_add_f64 v[8:9], v[4:5], -v[0:1]
	v_add_f64 v[10:11], v[6:7], v[2:3]
	v_add_f64 v[2:3], v[6:7], -v[2:3]
	v_add_f64 v[0:1], v[4:5], v[0:1]
	v_mul_f64 v[6:7], v[8:9], 0.5
	v_mul_f64 v[4:5], v[10:11], 0.5
	;; [unrolled: 1-line block ×3, first 2 shown]
	s_waitcnt vmcnt(0)
	v_mul_f64 v[8:9], v[6:7], v[17:18]
	v_fma_f64 v[10:11], v[4:5], v[17:18], v[2:3]
	v_fma_f64 v[2:3], v[4:5], v[17:18], -v[2:3]
	v_fma_f64 v[12:13], v[0:1], 0.5, v[8:9]
	v_fma_f64 v[0:1], v[0:1], 0.5, -v[8:9]
	v_fma_f64 v[10:11], -v[15:16], v[6:7], v[10:11]
	v_fma_f64 v[2:3], -v[15:16], v[6:7], v[2:3]
	v_fma_f64 v[8:9], v[4:5], v[15:16], v[12:13]
	v_mov_b32_e32 v12, v24
	v_fma_f64 v[0:1], -v[4:5], v[15:16], v[0:1]
	v_mov_b32_e32 v13, v25
                                        ; implicit-def: $vgpr4_vgpr5
.LBB0_16:
	s_andn2_saveexec_b32 s0, s1
	s_cbranch_execz .LBB0_18
; %bb.17:
	ds_read_b64 v[15:16], v28 offset:648
	s_waitcnt lgkmcnt(1)
	v_add_f64 v[8:9], v[4:5], v[6:7]
	v_add_f64 v[0:1], v[4:5], -v[6:7]
	v_mov_b32_e32 v10, 0
	v_mov_b32_e32 v11, 0
	;; [unrolled: 1-line block ×6, first 2 shown]
	s_waitcnt lgkmcnt(0)
	v_xor_b32_e32 v16, 0x80000000, v16
	ds_write_b64 v28, v[15:16] offset:648
.LBB0_18:
	s_or_b32 exec_lo, exec_lo, s0
	v_mov_b32_e32 v27, 0
	v_lshlrev_b64 v[12:13], 4, v[12:13]
	v_lshl_add_u32 v19, v26, 4, v28
	s_waitcnt lgkmcnt(0)
	v_lshlrev_b64 v[4:5], 4, v[26:27]
	v_add_co_u32 v4, s0, s12, v4
	v_add_co_ci_u32_e64 v5, s0, s13, v5, s0
	s_add_u32 s0, s12, 0x4b0
	s_addc_u32 s1, s13, 0
	v_add_co_u32 v12, s0, s0, v12
	global_load_dwordx4 v[4:7], v[4:5], off offset:1200
	v_add_co_ci_u32_e64 v13, s0, s1, v13, s0
	global_load_dwordx4 v[15:18], v[12:13], off offset:320
	ds_write2_b64 v29, v[8:9], v[10:11] offset1:1
	ds_write_b128 v14, v[0:3] offset:1280
	ds_read_b128 v[0:3], v19
	ds_read_b128 v[8:11], v14 offset:1120
	global_load_dwordx4 v[30:33], v[12:13], off offset:480
	s_waitcnt lgkmcnt(0)
	v_add_f64 v[12:13], v[0:1], -v[8:9]
	v_add_f64 v[25:26], v[2:3], v[10:11]
	v_add_f64 v[2:3], v[2:3], -v[10:11]
	v_add_f64 v[0:1], v[0:1], v[8:9]
	v_mul_f64 v[10:11], v[12:13], 0.5
	v_mul_f64 v[12:13], v[25:26], 0.5
	;; [unrolled: 1-line block ×3, first 2 shown]
	s_waitcnt vmcnt(2)
	v_mul_f64 v[8:9], v[10:11], v[6:7]
	v_fma_f64 v[25:26], v[12:13], v[6:7], v[2:3]
	v_fma_f64 v[2:3], v[12:13], v[6:7], -v[2:3]
	v_fma_f64 v[6:7], v[0:1], 0.5, v[8:9]
	v_fma_f64 v[0:1], v[0:1], 0.5, -v[8:9]
	v_fma_f64 v[8:9], -v[4:5], v[10:11], v[25:26]
	v_fma_f64 v[2:3], -v[4:5], v[10:11], v[2:3]
	v_fma_f64 v[6:7], v[12:13], v[4:5], v[6:7]
	v_fma_f64 v[0:1], -v[12:13], v[4:5], v[0:1]
	ds_write2_b64 v19, v[6:7], v[8:9] offset1:1
	ds_write_b128 v14, v[0:3] offset:1120
	ds_read_b128 v[0:3], v29 offset:320
	ds_read_b128 v[4:7], v14 offset:960
	s_waitcnt lgkmcnt(0)
	v_add_f64 v[8:9], v[0:1], -v[4:5]
	v_add_f64 v[10:11], v[2:3], v[6:7]
	v_add_f64 v[2:3], v[2:3], -v[6:7]
	v_add_f64 v[0:1], v[0:1], v[4:5]
	v_mul_f64 v[6:7], v[8:9], 0.5
	v_mul_f64 v[8:9], v[10:11], 0.5
	;; [unrolled: 1-line block ×3, first 2 shown]
	s_waitcnt vmcnt(1)
	v_mul_f64 v[4:5], v[6:7], v[17:18]
	v_fma_f64 v[10:11], v[8:9], v[17:18], v[2:3]
	v_fma_f64 v[2:3], v[8:9], v[17:18], -v[2:3]
	v_fma_f64 v[12:13], v[0:1], 0.5, v[4:5]
	v_fma_f64 v[0:1], v[0:1], 0.5, -v[4:5]
	v_fma_f64 v[4:5], -v[15:16], v[6:7], v[10:11]
	v_fma_f64 v[2:3], -v[15:16], v[6:7], v[2:3]
	v_fma_f64 v[6:7], v[8:9], v[15:16], v[12:13]
	v_fma_f64 v[0:1], -v[8:9], v[15:16], v[0:1]
	ds_write2_b64 v29, v[6:7], v[4:5] offset0:40 offset1:41
	ds_write_b128 v14, v[0:3] offset:960
	ds_read_b128 v[0:3], v29 offset:480
	ds_read_b128 v[4:7], v14 offset:800
	s_waitcnt lgkmcnt(0)
	v_add_f64 v[8:9], v[0:1], -v[4:5]
	v_add_f64 v[10:11], v[2:3], v[6:7]
	v_add_f64 v[2:3], v[2:3], -v[6:7]
	v_add_f64 v[0:1], v[0:1], v[4:5]
	v_mul_f64 v[6:7], v[8:9], 0.5
	v_mul_f64 v[8:9], v[10:11], 0.5
	v_mul_f64 v[2:3], v[2:3], 0.5
	s_waitcnt vmcnt(0)
	v_mul_f64 v[4:5], v[6:7], v[32:33]
	v_fma_f64 v[10:11], v[8:9], v[32:33], v[2:3]
	v_fma_f64 v[2:3], v[8:9], v[32:33], -v[2:3]
	v_fma_f64 v[12:13], v[0:1], 0.5, v[4:5]
	v_fma_f64 v[0:1], v[0:1], 0.5, -v[4:5]
	v_fma_f64 v[4:5], -v[30:31], v[6:7], v[10:11]
	v_fma_f64 v[2:3], -v[30:31], v[6:7], v[2:3]
	v_fma_f64 v[6:7], v[8:9], v[30:31], v[12:13]
	v_fma_f64 v[0:1], -v[8:9], v[30:31], v[0:1]
	ds_write2_b64 v29, v[6:7], v[4:5] offset0:60 offset1:61
	ds_write_b128 v14, v[0:3] offset:800
	s_waitcnt lgkmcnt(0)
	s_barrier
	buffer_gl0_inv
	s_and_saveexec_b32 s0, vcc_lo
	s_cbranch_execz .LBB0_21
; %bb.19:
	v_mul_lo_u32 v2, s3, v22
	v_mul_lo_u32 v3, s2, v23
	v_mad_u64_u32 v[0:1], null, s2, v22, 0
	v_add_nc_u32_e32 v26, 10, v24
	v_mov_b32_e32 v25, v27
	v_lshlrev_b64 v[19:20], 4, v[20:21]
	v_lshlrev_b64 v[21:22], 4, v[24:25]
	v_add3_u32 v1, v1, v3, v2
	v_lshl_add_u32 v2, v24, 4, v28
	ds_read_b128 v[3:6], v2
	ds_read_b128 v[7:10], v2 offset:160
	v_lshlrev_b64 v[0:1], 4, v[0:1]
	v_lshlrev_b64 v[28:29], 4, v[26:27]
	v_add_nc_u32_e32 v26, 20, v24
	ds_read_b128 v[11:14], v2 offset:320
	ds_read_b128 v[15:18], v2 offset:480
	v_add_co_u32 v0, vcc_lo, s10, v0
	v_add_co_ci_u32_e32 v1, vcc_lo, s11, v1, vcc_lo
	v_add_co_u32 v0, vcc_lo, v0, v19
	v_add_co_ci_u32_e32 v1, vcc_lo, v1, v20, vcc_lo
	v_lshlrev_b64 v[19:20], 4, v[26:27]
	v_add_nc_u32_e32 v26, 30, v24
	v_add_co_u32 v21, vcc_lo, v0, v21
	v_add_co_ci_u32_e32 v22, vcc_lo, v1, v22, vcc_lo
	v_lshlrev_b64 v[30:31], 4, v[26:27]
	v_add_nc_u32_e32 v26, 40, v24
	v_add_co_u32 v28, vcc_lo, v0, v28
	v_add_co_ci_u32_e32 v29, vcc_lo, v1, v29, vcc_lo
	v_add_co_u32 v19, vcc_lo, v0, v19
	s_waitcnt lgkmcnt(3)
	global_store_dwordx4 v[21:22], v[3:6], off
	v_lshlrev_b64 v[3:4], 4, v[26:27]
	v_add_nc_u32_e32 v26, 50, v24
	v_add_co_ci_u32_e32 v20, vcc_lo, v1, v20, vcc_lo
	v_add_co_u32 v30, vcc_lo, v0, v30
	v_add_co_ci_u32_e32 v31, vcc_lo, v1, v31, vcc_lo
	v_lshlrev_b64 v[21:22], 4, v[26:27]
	v_add_nc_u32_e32 v26, 60, v24
	s_waitcnt lgkmcnt(2)
	global_store_dwordx4 v[28:29], v[7:10], off
	s_waitcnt lgkmcnt(1)
	global_store_dwordx4 v[19:20], v[11:14], off
	;; [unrolled: 2-line block ×3, first 2 shown]
	v_add_co_u32 v19, vcc_lo, v0, v3
	v_add_co_ci_u32_e32 v20, vcc_lo, v1, v4, vcc_lo
	ds_read_b128 v[3:6], v2 offset:640
	ds_read_b128 v[7:10], v2 offset:800
	;; [unrolled: 1-line block ×4, first 2 shown]
	v_lshlrev_b64 v[28:29], 4, v[26:27]
	v_add_nc_u32_e32 v26, 0x46, v24
	v_add_co_u32 v21, vcc_lo, v0, v21
	v_add_co_ci_u32_e32 v22, vcc_lo, v1, v22, vcc_lo
	v_lshlrev_b64 v[25:26], 4, v[26:27]
	v_add_co_u32 v27, vcc_lo, v0, v28
	v_add_co_ci_u32_e32 v28, vcc_lo, v1, v29, vcc_lo
	v_add_co_u32 v25, vcc_lo, v0, v25
	v_add_co_ci_u32_e32 v26, vcc_lo, v1, v26, vcc_lo
	v_cmp_eq_u32_e32 vcc_lo, 9, v24
	s_waitcnt lgkmcnt(3)
	global_store_dwordx4 v[19:20], v[3:6], off
	s_waitcnt lgkmcnt(2)
	global_store_dwordx4 v[21:22], v[7:10], off
	;; [unrolled: 2-line block ×4, first 2 shown]
	s_and_b32 exec_lo, exec_lo, vcc_lo
	s_cbranch_execz .LBB0_21
; %bb.20:
	ds_read_b128 v[2:5], v2 offset:1136
	s_waitcnt lgkmcnt(0)
	global_store_dwordx4 v[0:1], v[2:5], off offset:1280
.LBB0_21:
	s_endpgm
	.section	.rodata,"a",@progbits
	.p2align	6, 0x0
	.amdhsa_kernel fft_rtc_fwd_len80_factors_5_2_8_wgs_60_tpt_10_halfLds_dp_op_CI_CI_unitstride_sbrr_R2C_dirReg
		.amdhsa_group_segment_fixed_size 0
		.amdhsa_private_segment_fixed_size 0
		.amdhsa_kernarg_size 104
		.amdhsa_user_sgpr_count 6
		.amdhsa_user_sgpr_private_segment_buffer 1
		.amdhsa_user_sgpr_dispatch_ptr 0
		.amdhsa_user_sgpr_queue_ptr 0
		.amdhsa_user_sgpr_kernarg_segment_ptr 1
		.amdhsa_user_sgpr_dispatch_id 0
		.amdhsa_user_sgpr_flat_scratch_init 0
		.amdhsa_user_sgpr_private_segment_size 0
		.amdhsa_wavefront_size32 1
		.amdhsa_uses_dynamic_stack 0
		.amdhsa_system_sgpr_private_segment_wavefront_offset 0
		.amdhsa_system_sgpr_workgroup_id_x 1
		.amdhsa_system_sgpr_workgroup_id_y 0
		.amdhsa_system_sgpr_workgroup_id_z 0
		.amdhsa_system_sgpr_workgroup_info 0
		.amdhsa_system_vgpr_workitem_id 0
		.amdhsa_next_free_vgpr 75
		.amdhsa_next_free_sgpr 27
		.amdhsa_reserve_vcc 1
		.amdhsa_reserve_flat_scratch 0
		.amdhsa_float_round_mode_32 0
		.amdhsa_float_round_mode_16_64 0
		.amdhsa_float_denorm_mode_32 3
		.amdhsa_float_denorm_mode_16_64 3
		.amdhsa_dx10_clamp 1
		.amdhsa_ieee_mode 1
		.amdhsa_fp16_overflow 0
		.amdhsa_workgroup_processor_mode 1
		.amdhsa_memory_ordered 1
		.amdhsa_forward_progress 0
		.amdhsa_shared_vgpr_count 0
		.amdhsa_exception_fp_ieee_invalid_op 0
		.amdhsa_exception_fp_denorm_src 0
		.amdhsa_exception_fp_ieee_div_zero 0
		.amdhsa_exception_fp_ieee_overflow 0
		.amdhsa_exception_fp_ieee_underflow 0
		.amdhsa_exception_fp_ieee_inexact 0
		.amdhsa_exception_int_div_zero 0
	.end_amdhsa_kernel
	.text
.Lfunc_end0:
	.size	fft_rtc_fwd_len80_factors_5_2_8_wgs_60_tpt_10_halfLds_dp_op_CI_CI_unitstride_sbrr_R2C_dirReg, .Lfunc_end0-fft_rtc_fwd_len80_factors_5_2_8_wgs_60_tpt_10_halfLds_dp_op_CI_CI_unitstride_sbrr_R2C_dirReg
                                        ; -- End function
	.section	.AMDGPU.csdata,"",@progbits
; Kernel info:
; codeLenInByte = 5964
; NumSgprs: 29
; NumVgprs: 75
; ScratchSize: 0
; MemoryBound: 0
; FloatMode: 240
; IeeeMode: 1
; LDSByteSize: 0 bytes/workgroup (compile time only)
; SGPRBlocks: 3
; VGPRBlocks: 9
; NumSGPRsForWavesPerEU: 29
; NumVGPRsForWavesPerEU: 75
; Occupancy: 12
; WaveLimiterHint : 1
; COMPUTE_PGM_RSRC2:SCRATCH_EN: 0
; COMPUTE_PGM_RSRC2:USER_SGPR: 6
; COMPUTE_PGM_RSRC2:TRAP_HANDLER: 0
; COMPUTE_PGM_RSRC2:TGID_X_EN: 1
; COMPUTE_PGM_RSRC2:TGID_Y_EN: 0
; COMPUTE_PGM_RSRC2:TGID_Z_EN: 0
; COMPUTE_PGM_RSRC2:TIDIG_COMP_CNT: 0
	.text
	.p2alignl 6, 3214868480
	.fill 48, 4, 3214868480
	.type	__hip_cuid_3fa6fcff1bdead26,@object ; @__hip_cuid_3fa6fcff1bdead26
	.section	.bss,"aw",@nobits
	.globl	__hip_cuid_3fa6fcff1bdead26
__hip_cuid_3fa6fcff1bdead26:
	.byte	0                               ; 0x0
	.size	__hip_cuid_3fa6fcff1bdead26, 1

	.ident	"AMD clang version 19.0.0git (https://github.com/RadeonOpenCompute/llvm-project roc-6.4.0 25133 c7fe45cf4b819c5991fe208aaa96edf142730f1d)"
	.section	".note.GNU-stack","",@progbits
	.addrsig
	.addrsig_sym __hip_cuid_3fa6fcff1bdead26
	.amdgpu_metadata
---
amdhsa.kernels:
  - .args:
      - .actual_access:  read_only
        .address_space:  global
        .offset:         0
        .size:           8
        .value_kind:     global_buffer
      - .offset:         8
        .size:           8
        .value_kind:     by_value
      - .actual_access:  read_only
        .address_space:  global
        .offset:         16
        .size:           8
        .value_kind:     global_buffer
      - .actual_access:  read_only
        .address_space:  global
        .offset:         24
        .size:           8
        .value_kind:     global_buffer
      - .actual_access:  read_only
        .address_space:  global
        .offset:         32
        .size:           8
        .value_kind:     global_buffer
      - .offset:         40
        .size:           8
        .value_kind:     by_value
      - .actual_access:  read_only
        .address_space:  global
        .offset:         48
        .size:           8
        .value_kind:     global_buffer
      - .actual_access:  read_only
        .address_space:  global
        .offset:         56
        .size:           8
        .value_kind:     global_buffer
      - .offset:         64
        .size:           4
        .value_kind:     by_value
      - .actual_access:  read_only
        .address_space:  global
        .offset:         72
        .size:           8
        .value_kind:     global_buffer
      - .actual_access:  read_only
        .address_space:  global
        .offset:         80
        .size:           8
        .value_kind:     global_buffer
      - .actual_access:  read_only
        .address_space:  global
        .offset:         88
        .size:           8
        .value_kind:     global_buffer
      - .actual_access:  write_only
        .address_space:  global
        .offset:         96
        .size:           8
        .value_kind:     global_buffer
    .group_segment_fixed_size: 0
    .kernarg_segment_align: 8
    .kernarg_segment_size: 104
    .language:       OpenCL C
    .language_version:
      - 2
      - 0
    .max_flat_workgroup_size: 60
    .name:           fft_rtc_fwd_len80_factors_5_2_8_wgs_60_tpt_10_halfLds_dp_op_CI_CI_unitstride_sbrr_R2C_dirReg
    .private_segment_fixed_size: 0
    .sgpr_count:     29
    .sgpr_spill_count: 0
    .symbol:         fft_rtc_fwd_len80_factors_5_2_8_wgs_60_tpt_10_halfLds_dp_op_CI_CI_unitstride_sbrr_R2C_dirReg.kd
    .uniform_work_group_size: 1
    .uses_dynamic_stack: false
    .vgpr_count:     75
    .vgpr_spill_count: 0
    .wavefront_size: 32
    .workgroup_processor_mode: 1
amdhsa.target:   amdgcn-amd-amdhsa--gfx1030
amdhsa.version:
  - 1
  - 2
...

	.end_amdgpu_metadata
